;; amdgpu-corpus repo=ROCm/rocm-examples kind=compiled arch=gfx1100 opt=O3
	.text
	.amdgcn_target "amdgcn-amd-amdhsa--gfx1100"
	.amdhsa_code_object_version 6
	.section	.text._Z14moving_averageILj256ELj97EEvPKjPjj,"axG",@progbits,_Z14moving_averageILj256ELj97EEvPKjPjj,comdat
	.protected	_Z14moving_averageILj256ELj97EEvPKjPjj ; -- Begin function _Z14moving_averageILj256ELj97EEvPKjPjj
	.globl	_Z14moving_averageILj256ELj97EEvPKjPjj
	.p2align	8
	.type	_Z14moving_averageILj256ELj97EEvPKjPjj,@function
_Z14moving_averageILj256ELj97EEvPKjPjj: ; @_Z14moving_averageILj256ELj97EEvPKjPjj
; %bb.0:
	s_clause 0x2
	s_load_b32 s2, s[0:1], 0x24
	s_load_b128 s[4:7], s[0:1], 0x0
	s_load_b32 s0, s[0:1], 0x10
	v_lshlrev_b32_e32 v3, 2, v0
	s_waitcnt lgkmcnt(0)
	s_and_b32 s1, s2, 0xffff
	s_delay_alu instid0(SALU_CYCLE_1)
	s_mul_i32 s15, s15, s1
	s_mov_b32 s1, exec_lo
	v_cmpx_gt_u32_e32 0x160, v0
	s_cbranch_execz .LBB0_5
; %bb.1:
	v_dual_mov_b32 v2, 0 :: v_dual_mov_b32 v5, v0
	v_mov_b32_e32 v4, v3
	s_mov_b32 s2, 0
	s_set_inst_prefetch_distance 0x1
	s_branch .LBB0_3
	.p2align	6
.LBB0_2:                                ;   in Loop: Header=BB0_3 Depth=1
	s_or_b32 exec_lo, exec_lo, s3
	v_add_nc_u32_e32 v1, 0x100, v5
	v_cmp_lt_u32_e32 vcc_lo, 0x5f, v5
	s_delay_alu instid0(VALU_DEP_2) | instskip(SKIP_1) | instid1(SALU_CYCLE_1)
	v_dual_mov_b32 v5, v1 :: v_dual_add_nc_u32 v4, 0x400, v4
	s_or_b32 s2, vcc_lo, s2
	s_and_not1_b32 exec_lo, exec_lo, s2
	s_cbranch_execz .LBB0_5
.LBB0_3:                                ; =>This Inner Loop Header: Depth=1
	s_delay_alu instid0(VALU_DEP_1) | instskip(SKIP_1) | instid1(VALU_DEP_1)
	v_add_nc_u32_e32 v1, s15, v5
	s_mov_b32 s3, exec_lo
	v_cmpx_gt_u32_e64 s0, v1
	s_cbranch_execz .LBB0_2
; %bb.4:                                ;   in Loop: Header=BB0_3 Depth=1
	v_lshlrev_b64 v[6:7], 2, v[1:2]
	s_delay_alu instid0(VALU_DEP_1) | instskip(NEXT) | instid1(VALU_DEP_2)
	v_add_co_u32 v6, vcc_lo, s4, v6
	v_add_co_ci_u32_e32 v7, vcc_lo, s5, v7, vcc_lo
	global_load_b32 v1, v[6:7], off
	s_waitcnt vmcnt(0)
	ds_store_b32 v4, v1
	s_branch .LBB0_2
.LBB0_5:
	s_set_inst_prefetch_distance 0x2
	s_or_b32 exec_lo, exec_lo, s1
	v_add_nc_u32_e32 v0, s15, v0
	s_addk_i32 s0, 0xffa0
	s_waitcnt lgkmcnt(0)
	s_barrier
	buffer_gl0_inv
	v_cmp_gt_u32_e32 vcc_lo, s0, v0
	s_and_saveexec_b32 s0, vcc_lo
	s_cbranch_execz .LBB0_7
; %bb.6:
	ds_load_2addr_b32 v[1:2], v3 offset0:6 offset1:7
	ds_load_2addr_b32 v[4:5], v3 offset0:4 offset1:5
	;; [unrolled: 1-line block ×3, first 2 shown]
	ds_load_2addr_b32 v[8:9], v3 offset1:1
	ds_load_2addr_b32 v[10:11], v3 offset0:14 offset1:15
	ds_load_2addr_b32 v[12:13], v3 offset0:12 offset1:13
	;; [unrolled: 1-line block ×26, first 2 shown]
	s_waitcnt lgkmcnt(26)
	v_add_nc_u32_e32 v7, v9, v7
	v_add_nc_u32_e32 v2, v5, v2
	s_waitcnt lgkmcnt(22)
	v_add_nc_u32_e32 v5, v17, v15
	v_add_nc_u32_e32 v9, v13, v11
	s_waitcnt lgkmcnt(18)
	v_add_nc_u32_e32 v11, v25, v23
	v_add3_u32 v6, v8, v6, v7
	v_add3_u32 v7, v4, v1, v2
	;; [unrolled: 1-line block ×3, first 2 shown]
	ds_load_2addr_b32 v[62:63], v3 offset0:58 offset1:59
	ds_load_2addr_b32 v[64:65], v3 offset0:56 offset1:57
	v_add3_u32 v10, v12, v10, v9
	v_add3_u32 v11, v24, v22, v11
	v_add_nc_u32_e32 v12, v21, v19
	v_add3_u32 v13, v6, v7, v8
	s_waitcnt lgkmcnt(16)
	v_add_nc_u32_e32 v14, v33, v31
	v_add_nc_u32_e32 v17, v29, v27
	ds_load_2addr_b32 v[1:2], v3 offset0:70 offset1:71
	ds_load_2addr_b32 v[4:5], v3 offset0:68 offset1:69
	v_add3_u32 v16, v20, v18, v12
	v_add3_u32 v15, v13, v10, v11
	;; [unrolled: 1-line block ×3, first 2 shown]
	s_waitcnt lgkmcnt(14)
	v_add_nc_u32_e32 v18, v41, v39
	ds_load_2addr_b32 v[6:7], v3 offset0:66 offset1:67
	ds_load_2addr_b32 v[8:9], v3 offset0:64 offset1:65
	v_add3_u32 v20, v28, v26, v17
	v_add_nc_u32_e32 v21, v37, v35
	v_add3_u32 v19, v15, v16, v14
	v_add3_u32 v18, v40, v38, v18
	s_waitcnt lgkmcnt(12)
	v_add_nc_u32_e32 v22, v49, v47
	ds_load_2addr_b32 v[10:11], v3 offset0:78 offset1:79
	ds_load_2addr_b32 v[12:13], v3 offset0:76 offset1:77
	;; [unrolled: 1-line block ×4, first 2 shown]
	v_add3_u32 v24, v36, v34, v21
	v_add3_u32 v23, v19, v20, v18
	;; [unrolled: 1-line block ×3, first 2 shown]
	v_add_nc_u32_e32 v25, v45, v43
	s_waitcnt lgkmcnt(12)
	v_add_nc_u32_e32 v26, v57, v55
	ds_load_2addr_b32 v[18:19], v3 offset0:86 offset1:87
	ds_load_2addr_b32 v[20:21], v3 offset0:84 offset1:85
	v_add_nc_u32_e32 v31, v53, v51
	v_add3_u32 v28, v23, v24, v22
	v_add3_u32 v29, v44, v42, v25
	;; [unrolled: 1-line block ×3, first 2 shown]
	s_waitcnt lgkmcnt(10)
	v_add_nc_u32_e32 v32, v65, v63
	ds_load_2addr_b32 v[22:23], v3 offset0:82 offset1:83
	ds_load_2addr_b32 v[24:25], v3 offset0:80 offset1:81
	ds_load_2addr_b32 v[26:27], v3 offset0:92 offset1:93
	v_add3_u32 v35, v52, v50, v31
	v_add_nc_u32_e32 v37, v61, v59
	v_add3_u32 v34, v28, v29, v30
	v_add3_u32 v36, v64, v62, v32
	ds_load_2addr_b32 v[28:29], v3 offset0:90 offset1:91
	ds_load_2addr_b32 v[30:31], v3 offset0:88 offset1:89
	;; [unrolled: 1-line block ×3, first 2 shown]
	s_waitcnt lgkmcnt(12)
	v_add_nc_u32_e32 v7, v9, v7
	v_add_nc_u32_e32 v2, v5, v2
	s_waitcnt lgkmcnt(8)
	v_add_nc_u32_e32 v5, v17, v15
	v_add3_u32 v9, v34, v35, v36
	v_add3_u32 v34, v60, v58, v37
	;; [unrolled: 1-line block ×5, first 2 shown]
	v_add_nc_u32_e32 v4, v13, v11
	ds_load_b32 v3, v3 offset:384
	v_add3_u32 v6, v9, v34, v6
	s_waitcnt lgkmcnt(5)
	v_add_nc_u32_e32 v5, v25, v23
	s_delay_alu instid0(VALU_DEP_2) | instskip(SKIP_1) | instid1(VALU_DEP_3)
	v_add3_u32 v1, v6, v1, v2
	v_add3_u32 v2, v12, v10, v4
	;; [unrolled: 1-line block ×3, first 2 shown]
	v_add_nc_u32_e32 v5, v21, v19
	s_waitcnt lgkmcnt(2)
	v_add_nc_u32_e32 v6, v31, v29
	s_delay_alu instid0(VALU_DEP_3) | instskip(NEXT) | instid1(VALU_DEP_3)
	v_add3_u32 v1, v1, v2, v4
	v_add3_u32 v2, v20, v18, v5
	s_delay_alu instid0(VALU_DEP_3) | instskip(SKIP_2) | instid1(VALU_DEP_2)
	v_add3_u32 v4, v30, v28, v6
	s_waitcnt lgkmcnt(1)
	v_add_nc_u32_e32 v5, v27, v33
	v_add3_u32 v1, v1, v2, v4
	s_delay_alu instid0(VALU_DEP_2) | instskip(SKIP_1) | instid1(VALU_DEP_1)
	v_add3_u32 v2, v26, v32, v5
	s_waitcnt lgkmcnt(0)
	v_add3_u32 v1, v1, v2, v3
	s_delay_alu instid0(VALU_DEP_1) | instskip(NEXT) | instid1(VALU_DEP_1)
	v_mul_hi_u32 v2, 0x51d07eaf, v1
	v_sub_nc_u32_e32 v1, v1, v2
	s_delay_alu instid0(VALU_DEP_1) | instskip(NEXT) | instid1(VALU_DEP_1)
	v_lshrrev_b32_e32 v3, 1, v1
	v_dual_mov_b32 v1, 0 :: v_dual_add_nc_u32 v2, v3, v2
	s_delay_alu instid0(VALU_DEP_1) | instskip(NEXT) | instid1(VALU_DEP_2)
	v_lshlrev_b64 v[0:1], 2, v[0:1]
	v_lshrrev_b32_e32 v2, 6, v2
	s_delay_alu instid0(VALU_DEP_2) | instskip(NEXT) | instid1(VALU_DEP_3)
	v_add_co_u32 v0, vcc_lo, s6, v0
	v_add_co_ci_u32_e32 v1, vcc_lo, s7, v1, vcc_lo
	global_store_b32 v[0:1], v2, off
.LBB0_7:
	s_nop 0
	s_sendmsg sendmsg(MSG_DEALLOC_VGPRS)
	s_endpgm
	.section	.rodata,"a",@progbits
	.p2align	6, 0x0
	.amdhsa_kernel _Z14moving_averageILj256ELj97EEvPKjPjj
		.amdhsa_group_segment_fixed_size 1408
		.amdhsa_private_segment_fixed_size 0
		.amdhsa_kernarg_size 280
		.amdhsa_user_sgpr_count 15
		.amdhsa_user_sgpr_dispatch_ptr 0
		.amdhsa_user_sgpr_queue_ptr 0
		.amdhsa_user_sgpr_kernarg_segment_ptr 1
		.amdhsa_user_sgpr_dispatch_id 0
		.amdhsa_user_sgpr_private_segment_size 0
		.amdhsa_wavefront_size32 1
		.amdhsa_uses_dynamic_stack 0
		.amdhsa_enable_private_segment 0
		.amdhsa_system_sgpr_workgroup_id_x 1
		.amdhsa_system_sgpr_workgroup_id_y 0
		.amdhsa_system_sgpr_workgroup_id_z 0
		.amdhsa_system_sgpr_workgroup_info 0
		.amdhsa_system_vgpr_workitem_id 0
		.amdhsa_next_free_vgpr 66
		.amdhsa_next_free_sgpr 16
		.amdhsa_reserve_vcc 1
		.amdhsa_float_round_mode_32 0
		.amdhsa_float_round_mode_16_64 0
		.amdhsa_float_denorm_mode_32 3
		.amdhsa_float_denorm_mode_16_64 3
		.amdhsa_dx10_clamp 1
		.amdhsa_ieee_mode 1
		.amdhsa_fp16_overflow 0
		.amdhsa_workgroup_processor_mode 1
		.amdhsa_memory_ordered 1
		.amdhsa_forward_progress 0
		.amdhsa_shared_vgpr_count 0
		.amdhsa_exception_fp_ieee_invalid_op 0
		.amdhsa_exception_fp_denorm_src 0
		.amdhsa_exception_fp_ieee_div_zero 0
		.amdhsa_exception_fp_ieee_overflow 0
		.amdhsa_exception_fp_ieee_underflow 0
		.amdhsa_exception_fp_ieee_inexact 0
		.amdhsa_exception_int_div_zero 0
	.end_amdhsa_kernel
	.section	.text._Z14moving_averageILj256ELj97EEvPKjPjj,"axG",@progbits,_Z14moving_averageILj256ELj97EEvPKjPjj,comdat
.Lfunc_end0:
	.size	_Z14moving_averageILj256ELj97EEvPKjPjj, .Lfunc_end0-_Z14moving_averageILj256ELj97EEvPKjPjj
                                        ; -- End function
	.section	.AMDGPU.csdata,"",@progbits
; Kernel info:
; codeLenInByte = 1192
; NumSgprs: 18
; NumVgprs: 66
; ScratchSize: 0
; MemoryBound: 0
; FloatMode: 240
; IeeeMode: 1
; LDSByteSize: 1408 bytes/workgroup (compile time only)
; SGPRBlocks: 2
; VGPRBlocks: 8
; NumSGPRsForWavesPerEU: 18
; NumVGPRsForWavesPerEU: 66
; Occupancy: 16
; WaveLimiterHint : 0
; COMPUTE_PGM_RSRC2:SCRATCH_EN: 0
; COMPUTE_PGM_RSRC2:USER_SGPR: 15
; COMPUTE_PGM_RSRC2:TRAP_HANDLER: 0
; COMPUTE_PGM_RSRC2:TGID_X_EN: 1
; COMPUTE_PGM_RSRC2:TGID_Y_EN: 0
; COMPUTE_PGM_RSRC2:TGID_Z_EN: 0
; COMPUTE_PGM_RSRC2:TIDIG_COMP_CNT: 0
	.text
	.p2alignl 7, 3214868480
	.fill 96, 4, 3214868480
	.type	__hip_cuid_ac59a2549a87160b,@object ; @__hip_cuid_ac59a2549a87160b
	.section	.bss,"aw",@nobits
	.globl	__hip_cuid_ac59a2549a87160b
__hip_cuid_ac59a2549a87160b:
	.byte	0                               ; 0x0
	.size	__hip_cuid_ac59a2549a87160b, 1

	.ident	"AMD clang version 19.0.0git (https://github.com/RadeonOpenCompute/llvm-project roc-6.4.0 25133 c7fe45cf4b819c5991fe208aaa96edf142730f1d)"
	.section	".note.GNU-stack","",@progbits
	.addrsig
	.addrsig_sym __hip_cuid_ac59a2549a87160b
	.amdgpu_metadata
---
amdhsa.kernels:
  - .args:
      - .address_space:  global
        .offset:         0
        .size:           8
        .value_kind:     global_buffer
      - .address_space:  global
        .offset:         8
        .size:           8
        .value_kind:     global_buffer
      - .offset:         16
        .size:           4
        .value_kind:     by_value
      - .offset:         24
        .size:           4
        .value_kind:     hidden_block_count_x
      - .offset:         28
        .size:           4
        .value_kind:     hidden_block_count_y
      - .offset:         32
        .size:           4
        .value_kind:     hidden_block_count_z
      - .offset:         36
        .size:           2
        .value_kind:     hidden_group_size_x
      - .offset:         38
        .size:           2
        .value_kind:     hidden_group_size_y
      - .offset:         40
        .size:           2
        .value_kind:     hidden_group_size_z
      - .offset:         42
        .size:           2
        .value_kind:     hidden_remainder_x
      - .offset:         44
        .size:           2
        .value_kind:     hidden_remainder_y
      - .offset:         46
        .size:           2
        .value_kind:     hidden_remainder_z
      - .offset:         64
        .size:           8
        .value_kind:     hidden_global_offset_x
      - .offset:         72
        .size:           8
        .value_kind:     hidden_global_offset_y
      - .offset:         80
        .size:           8
        .value_kind:     hidden_global_offset_z
      - .offset:         88
        .size:           2
        .value_kind:     hidden_grid_dims
    .group_segment_fixed_size: 1408
    .kernarg_segment_align: 8
    .kernarg_segment_size: 280
    .language:       OpenCL C
    .language_version:
      - 2
      - 0
    .max_flat_workgroup_size: 1024
    .name:           _Z14moving_averageILj256ELj97EEvPKjPjj
    .private_segment_fixed_size: 0
    .sgpr_count:     18
    .sgpr_spill_count: 0
    .symbol:         _Z14moving_averageILj256ELj97EEvPKjPjj.kd
    .uniform_work_group_size: 1
    .uses_dynamic_stack: false
    .vgpr_count:     66
    .vgpr_spill_count: 0
    .wavefront_size: 32
    .workgroup_processor_mode: 1
amdhsa.target:   amdgcn-amd-amdhsa--gfx1100
amdhsa.version:
  - 1
  - 2
...

	.end_amdgpu_metadata
